;; amdgpu-corpus repo=ROCm/rocFFT kind=compiled arch=gfx950 opt=O3
	.text
	.amdgcn_target "amdgcn-amd-amdhsa--gfx950"
	.amdhsa_code_object_version 6
	.protected	fft_rtc_back_len512_factors_8_8_8_wgs_512_tpt_128_sp_op_CI_CI_sbrc_z_xy_aligned ; -- Begin function fft_rtc_back_len512_factors_8_8_8_wgs_512_tpt_128_sp_op_CI_CI_sbrc_z_xy_aligned
	.globl	fft_rtc_back_len512_factors_8_8_8_wgs_512_tpt_128_sp_op_CI_CI_sbrc_z_xy_aligned
	.p2align	8
	.type	fft_rtc_back_len512_factors_8_8_8_wgs_512_tpt_128_sp_op_CI_CI_sbrc_z_xy_aligned,@function
fft_rtc_back_len512_factors_8_8_8_wgs_512_tpt_128_sp_op_CI_CI_sbrc_z_xy_aligned: ; @fft_rtc_back_len512_factors_8_8_8_wgs_512_tpt_128_sp_op_CI_CI_sbrc_z_xy_aligned
; %bb.0:
	s_load_dwordx8 s[4:11], s[0:1], 0x0
	v_and_b32_e32 v26, 0x7f, v0
	v_cmp_gt_u32_e32 vcc, 64, v26
	s_waitcnt lgkmcnt(0)
	s_load_dwordx4 s[12:15], s[8:9], 0x8
	s_waitcnt lgkmcnt(0)
	s_add_i32 s3, s12, -1
	s_lshr_b32 s3, s3, 2
	s_add_i32 s8, s3, 1
	s_mul_i32 s9, s8, s14
	v_cvt_f32_u32_e32 v2, s9
	v_cvt_f32_u32_e32 v1, s8
	s_sub_i32 s16, 0, s9
	s_load_dwordx4 s[12:15], s[10:11], 0x0
	v_rcp_iflag_f32_e32 v2, v2
	v_rcp_iflag_f32_e32 v1, v1
	s_waitcnt lgkmcnt(0)
	s_load_dword s15, s[10:11], 0x10
	v_mul_f32_e32 v2, 0x4f7ffffe, v2
	v_cvt_u32_f32_e32 v2, v2
	v_mul_f32_e32 v1, 0x4f7ffffe, v1
	v_cvt_u32_f32_e32 v1, v1
	v_readfirstlane_b32 s18, v2
	s_mul_i32 s16, s16, s18
	s_mul_hi_u32 s16, s18, s16
	s_add_i32 s18, s18, s16
	s_mul_hi_u32 s16, s2, s18
	s_mul_i32 s18, s16, s9
	s_sub_i32 s18, s2, s18
	s_add_i32 s19, s16, 1
	s_sub_i32 s20, s18, s9
	s_cmp_ge_u32 s18, s9
	s_cselect_b32 s16, s19, s16
	s_cselect_b32 s18, s20, s18
	s_add_i32 s19, s16, 1
	s_cmp_ge_u32 s18, s9
	v_readfirstlane_b32 s17, v1
	s_cselect_b32 s18, s19, s16
	s_not_b32 s3, s3
	s_mul_i32 s3, s3, s17
	s_mul_i32 s9, s18, s9
	s_mul_hi_u32 s3, s17, s3
	s_sub_i32 s9, s2, s9
	s_add_i32 s17, s17, s3
	s_mul_hi_u32 s3, s9, s17
	s_mul_i32 s16, s3, s8
	s_sub_i32 s9, s9, s16
	s_add_i32 s19, s3, 1
	s_sub_i32 s16, s9, s8
	s_cmp_ge_u32 s9, s8
	s_cselect_b32 s3, s19, s3
	s_cselect_b32 s9, s16, s9
	s_add_i32 s16, s3, 1
	s_cmp_ge_u32 s9, s8
	s_cselect_b32 s19, s16, s3
	s_mul_hi_u32 s3, s2, s17
	s_mul_i32 s3, s3, s8
	s_sub_i32 s2, s2, s3
	s_sub_i32 s3, s2, s8
	s_cmp_ge_u32 s2, s8
	s_cselect_b32 s2, s3, s2
	s_sub_i32 s3, s2, s8
	s_cmp_ge_u32 s2, s8
	s_cselect_b32 s2, s3, s2
	s_lshl_b32 s20, s2, 2
	s_waitcnt lgkmcnt(0)
	s_mul_i32 s3, s19, s15
	s_mul_i32 s2, s20, s14
	s_add_i32 s2, s2, s3
	s_lshl_b64 s[6:7], s[6:7], 3
	s_add_u32 s8, s10, s6
	s_addc_u32 s9, s11, s7
	s_load_dwordx2 s[10:11], s[8:9], 0x0
	s_load_dwordx2 s[22:23], s[0:1], 0x58
	;; [unrolled: 1-line block ×3, first 2 shown]
	s_mov_b32 s3, 0
	s_mov_b32 s15, s3
	s_waitcnt lgkmcnt(0)
	s_mul_i32 s8, s11, s18
	s_mul_hi_u32 s9, s10, s18
	s_add_i32 s9, s9, s8
	s_add_u32 s24, s16, s6
	s_addc_u32 s25, s17, s7
	v_mad_u64_u32 v[2:3], s[6:7], s12, v0, 0
	v_mov_b32_e32 v4, v3
	s_mul_i32 s8, s10, s18
	v_mad_u64_u32 v[4:5], s[6:7], s13, v0, v[4:5]
	s_lshl_b64 s[6:7], s[8:9], 3
	s_add_u32 s8, s22, s6
	s_addc_u32 s9, s23, s7
	s_lshl_b64 s[6:7], s[2:3], 3
	s_add_u32 s6, s8, s6
	v_mov_b32_e32 v3, v4
	s_addc_u32 s7, s9, s7
	v_lshl_add_u64 v[2:3], v[2:3], 3, s[6:7]
	s_add_i32 s2, s14, s14
	v_lshl_add_u64 v[6:7], s[2:3], 3, v[2:3]
	s_add_i32 s2, s2, s14
	v_lshl_add_u64 v[4:5], s[14:15], 3, v[2:3]
	v_lshl_add_u64 v[8:9], s[2:3], 3, v[2:3]
	global_load_dwordx2 v[10:11], v[2:3], off
	global_load_dwordx2 v[12:13], v[4:5], off
	global_load_dwordx2 v[14:15], v[6:7], off
	global_load_dwordx2 v[16:17], v[8:9], off
	v_lshlrev_b32_e32 v1, 2, v0
	v_and_b32_e32 v1, 0x600, v1
	v_lshlrev_b32_e32 v3, 3, v26
	v_lshlrev_b32_e32 v25, 3, v1
	v_lshl_add_u32 v2, v0, 3, 0
	v_add_u32_e32 v27, 0, v3
	v_add3_u32 v24, 0, v25, v3
	v_add_u32_e32 v1, v27, v25
	s_load_dwordx4 s[8:11], s[16:17], 0x0
	s_load_dwordx2 s[2:3], s[16:17], 0x10
	s_load_dwordx2 s[6:7], s[24:25], 0x0
	s_mov_b32 s12, 0x3f3504f3
	s_waitcnt vmcnt(2)
	ds_write2st64_b64 v2, v[10:11], v[12:13] offset1:8
	s_waitcnt vmcnt(0)
	ds_write2st64_b64 v2, v[14:15], v[16:17] offset0:16 offset1:24
	s_waitcnt lgkmcnt(0)
	s_barrier
	ds_read_b64 v[14:15], v24
	ds_read2st64_b64 v[2:5], v1 offset0:1 offset1:2
	ds_read2st64_b64 v[6:9], v1 offset0:3 offset1:4
	;; [unrolled: 1-line block ×3, first 2 shown]
	ds_read_b64 v[16:17], v1 offset:3584
	s_waitcnt lgkmcnt(0)
	s_barrier
	v_pk_add_f32 v[8:9], v[14:15], v[8:9] neg_lo:[0,1] neg_hi:[0,1]
	v_pk_add_f32 v[12:13], v[4:5], v[12:13] neg_lo:[0,1] neg_hi:[0,1]
	;; [unrolled: 1-line block ×4, first 2 shown]
	v_pk_add_f32 v[18:19], v[8:9], v[12:13] op_sel:[0,1] op_sel_hi:[1,0]
	v_pk_add_f32 v[20:21], v[8:9], v[12:13] op_sel:[0,1] op_sel_hi:[1,0] neg_lo:[0,1] neg_hi:[0,1]
	v_pk_add_f32 v[22:23], v[10:11], v[16:17] op_sel:[0,1] op_sel_hi:[1,0]
	v_pk_add_f32 v[28:29], v[10:11], v[16:17] op_sel:[0,1] op_sel_hi:[1,0] neg_lo:[0,1] neg_hi:[0,1]
	v_pk_fma_f32 v[14:15], v[14:15], 2.0, v[8:9] op_sel_hi:[1,0,1] neg_lo:[0,0,1] neg_hi:[0,0,1]
	v_pk_fma_f32 v[4:5], v[4:5], 2.0, v[12:13] op_sel_hi:[1,0,1] neg_lo:[0,0,1] neg_hi:[0,0,1]
	;; [unrolled: 1-line block ×4, first 2 shown]
	v_mov_b32_e32 v19, v21
	v_mov_b32_e32 v23, v29
	v_pk_add_f32 v[20:21], v[14:15], v[4:5] neg_lo:[0,1] neg_hi:[0,1]
	v_pk_add_f32 v[4:5], v[2:3], v[6:7] neg_lo:[0,1] neg_hi:[0,1]
	v_pk_fma_f32 v[28:29], v[8:9], 2.0, v[18:19] op_sel_hi:[1,0,1] neg_lo:[0,0,1] neg_hi:[0,0,1]
	v_pk_fma_f32 v[6:7], v[10:11], 2.0, v[22:23] op_sel_hi:[1,0,1] neg_lo:[0,0,1] neg_hi:[0,0,1]
	;; [unrolled: 1-line block ×4, first 2 shown]
	v_pk_mul_f32 v[8:9], v[22:23], s[12:13] op_sel_hi:[1,0]
	v_pk_fma_f32 v[22:23], v[22:23], s[12:13], v[18:19] op_sel_hi:[1,0,1]
	v_pk_add_f32 v[10:11], v[14:15], v[2:3] neg_lo:[0,1] neg_hi:[0,1]
	v_pk_mul_f32 v[2:3], v[6:7], s[12:13] op_sel_hi:[1,0]
	v_pk_fma_f32 v[30:31], v[6:7], s[12:13], v[28:29] op_sel_hi:[1,0,1] neg_lo:[1,0,0] neg_hi:[1,0,0]
	v_pk_add_f32 v[12:13], v[20:21], v[4:5] op_sel:[0,1] op_sel_hi:[1,0]
	v_pk_add_f32 v[4:5], v[20:21], v[4:5] op_sel:[0,1] op_sel_hi:[1,0] neg_lo:[0,1] neg_hi:[0,1]
	v_pk_add_f32 v[16:17], v[22:23], v[8:9] op_sel:[0,1] op_sel_hi:[1,0]
	v_pk_add_f32 v[8:9], v[22:23], v[8:9] op_sel:[0,1] op_sel_hi:[1,0] neg_lo:[0,1] neg_hi:[0,1]
	v_pk_fma_f32 v[6:7], v[14:15], 2.0, v[10:11] op_sel_hi:[1,0,1] neg_lo:[0,0,1] neg_hi:[0,0,1]
	v_pk_add_f32 v[14:15], v[30:31], v[2:3] op_sel:[0,1] op_sel_hi:[1,0]
	v_pk_add_f32 v[2:3], v[30:31], v[2:3] op_sel:[0,1] op_sel_hi:[1,0] neg_lo:[0,1] neg_hi:[0,1]
	v_mov_b32_e32 v13, v5
	v_mov_b32_e32 v17, v9
	;; [unrolled: 1-line block ×3, first 2 shown]
	v_pk_fma_f32 v[22:23], v[20:21], 2.0, v[12:13] op_sel_hi:[1,0,1] neg_lo:[0,0,1] neg_hi:[0,0,1]
	v_pk_fma_f32 v[18:19], v[18:19], 2.0, v[16:17] op_sel_hi:[1,0,1] neg_lo:[0,0,1] neg_hi:[0,0,1]
	;; [unrolled: 1-line block ×3, first 2 shown]
	s_and_saveexec_b64 s[12:13], vcc
	s_cbranch_execz .LBB0_2
; %bb.1:
	v_mul_u32_u24_e32 v2, 56, v26
	v_add3_u32 v2, v27, v2, v25
	ds_write2_b64 v2, v[6:7], v[20:21] offset1:1
	ds_write2_b64 v2, v[22:23], v[18:19] offset0:2 offset1:3
	ds_write2_b64 v2, v[10:11], v[14:15] offset0:4 offset1:5
	;; [unrolled: 1-line block ×3, first 2 shown]
.LBB0_2:
	s_or_b64 exec, exec, s[12:13]
	s_waitcnt lgkmcnt(0)
	s_barrier
	s_and_saveexec_b64 s[12:13], vcc
	s_cbranch_execz .LBB0_4
; %bb.3:
	ds_read_b64 v[8:9], v1 offset:3584
	ds_read2st64_b64 v[2:5], v1 offset0:5 offset1:6
	ds_read2st64_b64 v[20:23], v1 offset0:1 offset1:2
	;; [unrolled: 1-line block ×3, first 2 shown]
	ds_read_b64 v[6:7], v24
	s_waitcnt lgkmcnt(4)
	v_mov_b32_e32 v16, v8
	s_waitcnt lgkmcnt(3)
	v_mov_b32_e32 v12, v4
	v_mov_b32_e32 v14, v2
	s_waitcnt lgkmcnt(1)
	v_mov_b32_e32 v11, v29
	v_mov_b32_e32 v10, v28
	;; [unrolled: 1-line block ×4, first 2 shown]
.LBB0_4:
	s_or_b64 exec, exec, s[12:13]
	v_and_b32_e32 v26, 7, v0
	v_mul_u32_u24_e32 v2, 7, v26
	v_lshlrev_b32_e32 v2, 3, v2
	global_load_dwordx4 v[28:31], v2, s[4:5] offset:16
	global_load_dwordx2 v[40:41], v2, s[4:5] offset:48
	global_load_dwordx4 v[32:35], v2, s[4:5]
	global_load_dwordx4 v[36:39], v2, s[4:5] offset:32
	v_mov_b32_e32 v2, v21
	v_mov_b32_e32 v8, v11
	;; [unrolled: 1-line block ×6, first 2 shown]
	s_mov_b32 s12, 0x3f3504f3
	s_waitcnt lgkmcnt(0)
	s_barrier
	s_waitcnt vmcnt(3)
	v_mul_f32_e32 v27, v19, v29
	v_mul_f32_e32 v5, v18, v29
	s_waitcnt vmcnt(2)
	v_mul_f32_e32 v29, v9, v41
	v_mul_f32_e32 v11, v16, v41
	s_waitcnt vmcnt(1)
	v_pk_mul_f32 v[2:3], v[2:3], v[32:33] op_sel_hi:[0,1]
	v_pk_mul_f32 v[22:23], v[22:23], v[34:35] op_sel_hi:[0,1]
	;; [unrolled: 1-line block ×3, first 2 shown]
	s_waitcnt vmcnt(0)
	v_pk_mul_f32 v[42:43], v[42:43], v[36:37] op_sel_hi:[0,1]
	v_pk_mul_f32 v[12:13], v[12:13], v[38:39] op_sel_hi:[0,1]
	v_fmac_f32_e32 v27, v18, v28
	v_fma_f32 v28, v19, v28, -v5
	v_fmac_f32_e32 v29, v16, v40
	v_fma_f32 v40, v9, v40, -v11
	v_pk_fma_f32 v[8:9], v[20:21], v[32:33], v[2:3] op_sel:[0,0,1] op_sel_hi:[0,1,0]
	v_pk_fma_f32 v[2:3], v[20:21], v[32:33], v[2:3] op_sel:[0,0,1] op_sel_hi:[0,1,0] neg_lo:[1,0,0] neg_hi:[1,0,0]
	v_pk_fma_f32 v[16:17], v[4:5], v[34:35], v[22:23] op_sel:[0,0,1] op_sel_hi:[0,1,0] neg_lo:[0,0,1] neg_hi:[0,0,1]
	v_pk_fma_f32 v[4:5], v[4:5], v[34:35], v[22:23] op_sel:[0,0,1] op_sel_hi:[0,1,0]
	v_pk_fma_f32 v[18:19], v[10:11], v[30:31], v[48:49] op_sel:[0,0,1] op_sel_hi:[1,1,0]
	v_pk_fma_f32 v[10:11], v[10:11], v[30:31], v[48:49] op_sel:[0,0,1] op_sel_hi:[0,1,0] neg_lo:[1,0,0] neg_hi:[1,0,0]
	v_pk_fma_f32 v[20:21], v[14:15], v[36:37], v[42:43] op_sel:[0,0,1] op_sel_hi:[1,1,0]
	v_pk_fma_f32 v[14:15], v[14:15], v[36:37], v[42:43] op_sel:[0,0,1] op_sel_hi:[0,1,0] neg_lo:[1,0,0] neg_hi:[1,0,0]
	v_pk_fma_f32 v[22:23], v[44:45], v[38:39], v[12:13] op_sel:[0,0,1] op_sel_hi:[1,1,0] neg_lo:[0,0,1] neg_hi:[0,0,1]
	v_pk_fma_f32 v[12:13], v[46:47], v[38:39], v[12:13] op_sel:[0,0,1] op_sel_hi:[0,1,0]
	v_mov_b32_e32 v9, v3
	v_mov_b32_e32 v17, v5
	;; [unrolled: 1-line block ×5, first 2 shown]
	v_sub_f32_e32 v29, v27, v29
	v_sub_f32_e32 v2, v28, v40
	v_pk_add_f32 v[12:13], v[6:7], v[18:19] neg_lo:[0,1] neg_hi:[0,1]
	v_pk_add_f32 v[14:15], v[16:17], v[22:23] neg_lo:[0,1] neg_hi:[0,1]
	;; [unrolled: 1-line block ×3, first 2 shown]
	v_fma_f32 v10, v27, 2.0, -v29
	v_fma_f32 v11, v28, 2.0, -v2
	;; [unrolled: 1-line block ×8, first 2 shown]
	v_pk_add_f32 v[30:31], v[12:13], v[14:15]
	v_pk_add_f32 v[14:15], v[12:13], v[14:15] neg_lo:[0,1] neg_hi:[0,1]
	v_mov_b32_e32 v3, v19
	v_mov_b32_e32 v28, v18
	;; [unrolled: 1-line block ×3, first 2 shown]
	v_pk_add_f32 v[2:3], v[2:3], v[18:19]
	v_pk_add_f32 v[14:15], v[18:19], v[28:29] neg_lo:[0,1] neg_hi:[0,1]
	v_pk_add_f32 v[20:21], v[6:7], v[4:5] neg_lo:[0,1] neg_hi:[0,1]
	;; [unrolled: 1-line block ×3, first 2 shown]
	v_mov_b32_e32 v3, v15
	v_pk_fma_f32 v[6:7], v[6:7], 2.0, v[20:21] op_sel_hi:[1,0,1] neg_lo:[0,0,1] neg_hi:[0,0,1]
	v_pk_fma_f32 v[8:9], v[8:9], 2.0, v[4:5] op_sel_hi:[1,0,1] neg_lo:[0,0,1] neg_hi:[0,0,1]
	v_pk_fma_f32 v[28:29], v[12:13], 2.0, v[30:31] op_sel_hi:[1,0,1] neg_lo:[0,0,1] neg_hi:[0,0,1]
	v_pk_add_f32 v[16:17], v[20:21], v[4:5] op_sel:[0,1] op_sel_hi:[1,0]
	v_pk_add_f32 v[12:13], v[20:21], v[4:5] op_sel:[0,1] op_sel_hi:[1,0] neg_lo:[0,1] neg_hi:[0,1]
	v_pk_fma_f32 v[10:11], v[18:19], 2.0, v[2:3] op_sel_hi:[1,0,1] neg_lo:[0,0,1] neg_hi:[0,0,1]
	v_pk_add_f32 v[4:5], v[6:7], v[8:9] neg_lo:[0,1] neg_hi:[0,1]
	v_mov_b32_e32 v17, v13
	v_pk_mul_f32 v[22:23], v[2:3], s[12:13] op_sel_hi:[1,0]
	v_pk_fma_f32 v[2:3], v[2:3], s[12:13], v[30:31] op_sel_hi:[1,0,1]
	v_pk_fma_f32 v[14:15], v[6:7], 2.0, v[4:5] op_sel_hi:[1,0,1] neg_lo:[0,0,1] neg_hi:[0,0,1]
	v_pk_mul_f32 v[6:7], v[10:11], s[12:13] op_sel_hi:[1,0]
	v_pk_fma_f32 v[10:11], v[10:11], s[12:13], v[28:29] op_sel_hi:[1,0,1] neg_lo:[1,0,0] neg_hi:[1,0,0]
	v_pk_fma_f32 v[8:9], v[20:21], 2.0, v[16:17] op_sel_hi:[1,0,1] neg_lo:[0,0,1] neg_hi:[0,0,1]
	v_pk_add_f32 v[18:19], v[2:3], v[22:23] op_sel:[0,1] op_sel_hi:[1,0]
	v_pk_add_f32 v[22:23], v[2:3], v[22:23] op_sel:[0,1] op_sel_hi:[1,0] neg_lo:[0,1] neg_hi:[0,1]
	v_pk_add_f32 v[20:21], v[10:11], v[6:7] op_sel:[0,1] op_sel_hi:[1,0]
	v_pk_add_f32 v[10:11], v[10:11], v[6:7] op_sel:[0,1] op_sel_hi:[1,0] neg_lo:[0,1] neg_hi:[0,1]
	v_mov_b32_e32 v19, v23
	v_mov_b32_e32 v21, v11
	v_pk_fma_f32 v[2:3], v[30:31], 2.0, v[18:19] op_sel_hi:[1,0,1] neg_lo:[0,0,1] neg_hi:[0,0,1]
	v_pk_fma_f32 v[6:7], v[28:29], 2.0, v[20:21] op_sel_hi:[1,0,1] neg_lo:[0,0,1] neg_hi:[0,0,1]
	s_and_saveexec_b64 s[12:13], vcc
	s_cbranch_execz .LBB0_6
; %bb.5:
	v_lshlrev_b32_e32 v10, 3, v0
	s_movk_i32 s3, 0x1c0
	v_and_or_b32 v10, v10, s3, v26
	v_lshlrev_b32_e32 v10, 3, v10
	v_add3_u32 v10, 0, v10, v25
	ds_write2_b64 v10, v[14:15], v[6:7] offset1:8
	ds_write2_b64 v10, v[8:9], v[2:3] offset0:16 offset1:24
	ds_write2_b64 v10, v[4:5], v[20:21] offset0:32 offset1:40
	;; [unrolled: 1-line block ×3, first 2 shown]
.LBB0_6:
	s_or_b64 exec, exec, s[12:13]
	s_load_dwordx2 s[0:1], s[0:1], 0x60
	s_waitcnt lgkmcnt(0)
	s_barrier
	s_and_saveexec_b64 s[12:13], vcc
	s_cbranch_execz .LBB0_8
; %bb.7:
	ds_read2st64_b64 v[10:13], v1 offset0:5 offset1:6
	ds_read_b64 v[22:23], v1 offset:3584
	ds_read_b64 v[14:15], v24
	ds_read2st64_b64 v[6:9], v1 offset0:1 offset1:2
	ds_read2st64_b64 v[2:5], v1 offset0:3 offset1:4
	s_waitcnt lgkmcnt(4)
	v_mov_b32_e32 v16, v12
	s_waitcnt lgkmcnt(3)
	v_mov_b32_e32 v18, v22
	v_mov_b32_e32 v20, v10
.LBB0_8:
	s_or_b64 exec, exec, s[12:13]
	s_waitcnt lgkmcnt(0)
	s_barrier
	s_and_saveexec_b64 s[12:13], vcc
	s_cbranch_execz .LBB0_10
; %bb.9:
	v_and_b32_e32 v10, 63, v0
	v_mul_u32_u24_e32 v10, 7, v10
	v_lshlrev_b32_e32 v10, 3, v10
	global_load_dwordx4 v[26:29], v10, s[4:5] offset:464
	global_load_dwordx4 v[30:33], v10, s[4:5] offset:448
	;; [unrolled: 1-line block ×3, first 2 shown]
	global_load_dwordx2 v[38:39], v10, s[4:5] offset:496
	v_mov_b32_e32 v10, v5
	v_mov_b32_e32 v12, v9
	;; [unrolled: 1-line block ×7, first 2 shown]
	s_mov_b32 s4, 0x3f3504f3
	s_waitcnt vmcnt(3)
	v_pk_mul_f32 v[10:11], v[10:11], v[28:29] op_sel_hi:[0,1]
	s_waitcnt vmcnt(2)
	v_pk_mul_f32 v[12:13], v[12:13], v[32:33] op_sel_hi:[0,1]
	;; [unrolled: 2-line block ×3, first 2 shown]
	v_pk_mul_f32 v[40:41], v[40:41], v[30:31] op_sel_hi:[0,1]
	v_pk_mul_f32 v[42:43], v[42:43], v[34:35] op_sel_hi:[0,1]
	;; [unrolled: 1-line block ×3, first 2 shown]
	s_waitcnt vmcnt(0)
	v_pk_mul_f32 v[46:47], v[46:47], v[38:39] op_sel_hi:[0,1]
	v_pk_fma_f32 v[48:49], v[8:9], v[32:33], v[12:13] op_sel:[0,0,1] op_sel_hi:[1,1,0]
	v_pk_fma_f32 v[8:9], v[8:9], v[32:33], v[12:13] op_sel:[0,0,1] op_sel_hi:[0,1,0] neg_lo:[1,0,0] neg_hi:[1,0,0]
	v_pk_fma_f32 v[12:13], v[16:17], v[36:37], v[22:23] op_sel:[0,0,1] op_sel_hi:[1,1,0]
	v_pk_fma_f32 v[16:17], v[16:17], v[36:37], v[22:23] op_sel:[0,0,1] op_sel_hi:[0,1,0] neg_lo:[1,0,0] neg_hi:[1,0,0]
	;; [unrolled: 2-line block ×7, first 2 shown]
	v_mov_b32_e32 v49, v9
	v_mov_b32_e32 v13, v17
	;; [unrolled: 1-line block ×7, first 2 shown]
	v_pk_add_f32 v[2:3], v[48:49], v[12:13] neg_lo:[0,1] neg_hi:[0,1]
	v_pk_add_f32 v[4:5], v[14:15], v[22:23] neg_lo:[0,1] neg_hi:[0,1]
	v_pk_add_f32 v[6:7], v[10:11], v[26:27] neg_lo:[0,1] neg_hi:[0,1]
	v_pk_add_f32 v[8:9], v[28:29], v[30:31] neg_lo:[0,1] neg_hi:[0,1]
	v_pk_fma_f32 v[12:13], v[14:15], 2.0, v[4:5] op_sel_hi:[1,0,1] neg_lo:[0,0,1] neg_hi:[0,0,1]
	v_pk_fma_f32 v[14:15], v[48:49], 2.0, v[2:3] op_sel_hi:[1,0,1] neg_lo:[0,0,1] neg_hi:[0,0,1]
	;; [unrolled: 1-line block ×4, first 2 shown]
	v_pk_add_f32 v[18:19], v[4:5], v[2:3] op_sel:[0,1] op_sel_hi:[1,0]
	v_pk_add_f32 v[2:3], v[4:5], v[2:3] op_sel:[0,1] op_sel_hi:[1,0] neg_lo:[0,1] neg_hi:[0,1]
	v_pk_add_f32 v[20:21], v[8:9], v[6:7] op_sel:[0,1] op_sel_hi:[1,0]
	v_pk_add_f32 v[6:7], v[8:9], v[6:7] op_sel:[0,1] op_sel_hi:[1,0] neg_lo:[0,1] neg_hi:[0,1]
	v_pk_add_f32 v[14:15], v[12:13], v[14:15] neg_lo:[0,1] neg_hi:[0,1]
	v_pk_add_f32 v[10:11], v[16:17], v[10:11] neg_lo:[0,1] neg_hi:[0,1]
	v_mov_b32_e32 v19, v3
	v_mov_b32_e32 v21, v7
	v_pk_fma_f32 v[2:3], v[12:13], 2.0, v[14:15] op_sel_hi:[1,0,1] neg_lo:[0,0,1] neg_hi:[0,0,1]
	v_pk_fma_f32 v[6:7], v[16:17], 2.0, v[10:11] op_sel_hi:[1,0,1] neg_lo:[0,0,1] neg_hi:[0,0,1]
	;; [unrolled: 1-line block ×4, first 2 shown]
	v_pk_add_f32 v[12:13], v[14:15], v[10:11] op_sel:[0,1] op_sel_hi:[1,0]
	v_pk_add_f32 v[10:11], v[14:15], v[10:11] op_sel:[0,1] op_sel_hi:[1,0] neg_lo:[0,1] neg_hi:[0,1]
	v_pk_mul_f32 v[16:17], v[20:21], s[4:5] op_sel_hi:[1,0]
	v_pk_fma_f32 v[20:21], v[20:21], s[4:5], v[18:19] op_sel_hi:[1,0,1]
	v_pk_add_f32 v[6:7], v[2:3], v[6:7] neg_lo:[0,1] neg_hi:[0,1]
	v_pk_mul_f32 v[22:23], v[8:9], s[4:5] op_sel_hi:[1,0]
	v_pk_fma_f32 v[8:9], v[8:9], s[4:5], v[4:5] op_sel_hi:[1,0,1] neg_lo:[1,0,0] neg_hi:[1,0,0]
	v_mov_b32_e32 v13, v11
	v_pk_add_f32 v[10:11], v[20:21], v[16:17] op_sel:[0,1] op_sel_hi:[1,0]
	v_pk_add_f32 v[16:17], v[20:21], v[16:17] op_sel:[0,1] op_sel_hi:[1,0] neg_lo:[0,1] neg_hi:[0,1]
	v_pk_fma_f32 v[2:3], v[2:3], 2.0, v[6:7] op_sel_hi:[1,0,1] neg_lo:[0,0,1] neg_hi:[0,0,1]
	v_pk_add_f32 v[20:21], v[8:9], v[22:23] op_sel:[0,1] op_sel_hi:[1,0]
	v_pk_add_f32 v[8:9], v[8:9], v[22:23] op_sel:[0,1] op_sel_hi:[1,0] neg_lo:[0,1] neg_hi:[0,1]
	v_mov_b32_e32 v11, v17
	ds_write_b64 v24, v[2:3]
	v_mov_b32_e32 v21, v9
	v_pk_fma_f32 v[2:3], v[18:19], 2.0, v[10:11] op_sel_hi:[1,0,1] neg_lo:[0,0,1] neg_hi:[0,0,1]
	v_pk_fma_f32 v[14:15], v[14:15], 2.0, v[12:13] op_sel_hi:[1,0,1] neg_lo:[0,0,1] neg_hi:[0,0,1]
	;; [unrolled: 1-line block ×3, first 2 shown]
	ds_write2st64_b64 v1, v[2:3], v[6:7] offset0:3 offset1:4
	ds_write2st64_b64 v1, v[20:21], v[12:13] offset0:5 offset1:6
	ds_write2st64_b64 v1, v[4:5], v[14:15] offset0:1 offset1:2
	ds_write_b64 v1, v[10:11] offset:3584
.LBB0_10:
	s_or_b64 exec, exec, s[12:13]
	s_mul_i32 s3, s9, s20
	s_mul_hi_u32 s4, s8, s20
	v_and_b32_e32 v3, 3, v0
	s_add_i32 s5, s4, s3
	s_mul_i32 s4, s8, s20
	s_mul_i32 s3, s7, s18
	s_mul_hi_u32 s7, s6, s18
	v_mad_u64_u32 v[4:5], s[12:13], s8, v3, 0
	s_add_i32 s7, s7, s3
	v_lshrrev_b32_e32 v2, 2, v0
	v_mov_b32_e32 v0, v5
	s_lshl_b64 s[4:5], s[4:5], 3
	s_mul_i32 s10, s19, s10
	s_mov_b32 s11, 0
	v_mad_u64_u32 v[0:1], s[8:9], s9, v3, v[0:1]
	v_lshlrev_b32_e32 v10, 12, v3
	v_lshlrev_b32_e32 v11, 3, v2
	s_add_u32 s3, s0, s4
	v_mov_b32_e32 v5, v0
	v_or_b32_e32 v0, v10, v11
	s_addc_u32 s4, s1, s5
	s_lshl_b64 s[0:1], s[10:11], 3
	s_mul_i32 s6, s6, s18
	v_add_u32_e32 v12, 0, v0
	s_add_u32 s3, s3, s0
	s_waitcnt lgkmcnt(0)
	s_barrier
	v_mul_lo_u32 v6, v2, s2
	s_addc_u32 s4, s4, s1
	s_lshl_b64 s[0:1], s[6:7], 3
	ds_read2st64_b64 v[0:3], v12 offset1:2
	s_add_u32 s0, s3, s0
	s_addc_u32 s1, s4, s1
	v_mov_b32_e32 v7, 0
	v_lshl_add_u64 v[4:5], v[4:5], 3, s[0:1]
	s_lshl_b32 s0, s2, 7
	v_lshl_add_u64 v[8:9], v[6:7], 3, v[4:5]
	v_add_u32_e32 v6, s0, v6
	s_waitcnt lgkmcnt(0)
	global_store_dwordx2 v[8:9], v[0:1], off
	v_lshl_add_u64 v[0:1], v[6:7], 3, v[4:5]
	global_store_dwordx2 v[0:1], v[2:3], off
	ds_read_b64 v[0:1], v12 offset:2048
	v_add3_u32 v2, 0, v10, v11
	ds_read_b64 v[2:3], v2 offset:3072
	v_add_u32_e32 v6, s0, v6
	v_lshl_add_u64 v[8:9], v[6:7], 3, v[4:5]
	v_add_u32_e32 v6, s0, v6
	s_waitcnt lgkmcnt(1)
	global_store_dwordx2 v[8:9], v[0:1], off
	v_lshl_add_u64 v[0:1], v[6:7], 3, v[4:5]
	s_waitcnt lgkmcnt(0)
	global_store_dwordx2 v[0:1], v[2:3], off
	s_endpgm
	.section	.rodata,"a",@progbits
	.p2align	6, 0x0
	.amdhsa_kernel fft_rtc_back_len512_factors_8_8_8_wgs_512_tpt_128_sp_op_CI_CI_sbrc_z_xy_aligned
		.amdhsa_group_segment_fixed_size 0
		.amdhsa_private_segment_fixed_size 0
		.amdhsa_kernarg_size 104
		.amdhsa_user_sgpr_count 2
		.amdhsa_user_sgpr_dispatch_ptr 0
		.amdhsa_user_sgpr_queue_ptr 0
		.amdhsa_user_sgpr_kernarg_segment_ptr 1
		.amdhsa_user_sgpr_dispatch_id 0
		.amdhsa_user_sgpr_kernarg_preload_length 0
		.amdhsa_user_sgpr_kernarg_preload_offset 0
		.amdhsa_user_sgpr_private_segment_size 0
		.amdhsa_uses_dynamic_stack 0
		.amdhsa_enable_private_segment 0
		.amdhsa_system_sgpr_workgroup_id_x 1
		.amdhsa_system_sgpr_workgroup_id_y 0
		.amdhsa_system_sgpr_workgroup_id_z 0
		.amdhsa_system_sgpr_workgroup_info 0
		.amdhsa_system_vgpr_workitem_id 0
		.amdhsa_next_free_vgpr 50
		.amdhsa_next_free_sgpr 26
		.amdhsa_accum_offset 52
		.amdhsa_reserve_vcc 1
		.amdhsa_float_round_mode_32 0
		.amdhsa_float_round_mode_16_64 0
		.amdhsa_float_denorm_mode_32 3
		.amdhsa_float_denorm_mode_16_64 3
		.amdhsa_dx10_clamp 1
		.amdhsa_ieee_mode 1
		.amdhsa_fp16_overflow 0
		.amdhsa_tg_split 0
		.amdhsa_exception_fp_ieee_invalid_op 0
		.amdhsa_exception_fp_denorm_src 0
		.amdhsa_exception_fp_ieee_div_zero 0
		.amdhsa_exception_fp_ieee_overflow 0
		.amdhsa_exception_fp_ieee_underflow 0
		.amdhsa_exception_fp_ieee_inexact 0
		.amdhsa_exception_int_div_zero 0
	.end_amdhsa_kernel
	.text
.Lfunc_end0:
	.size	fft_rtc_back_len512_factors_8_8_8_wgs_512_tpt_128_sp_op_CI_CI_sbrc_z_xy_aligned, .Lfunc_end0-fft_rtc_back_len512_factors_8_8_8_wgs_512_tpt_128_sp_op_CI_CI_sbrc_z_xy_aligned
                                        ; -- End function
	.section	.AMDGPU.csdata,"",@progbits
; Kernel info:
; codeLenInByte = 2772
; NumSgprs: 32
; NumVgprs: 50
; NumAgprs: 0
; TotalNumVgprs: 50
; ScratchSize: 0
; MemoryBound: 0
; FloatMode: 240
; IeeeMode: 1
; LDSByteSize: 0 bytes/workgroup (compile time only)
; SGPRBlocks: 3
; VGPRBlocks: 6
; NumSGPRsForWavesPerEU: 32
; NumVGPRsForWavesPerEU: 50
; AccumOffset: 52
; Occupancy: 8
; WaveLimiterHint : 1
; COMPUTE_PGM_RSRC2:SCRATCH_EN: 0
; COMPUTE_PGM_RSRC2:USER_SGPR: 2
; COMPUTE_PGM_RSRC2:TRAP_HANDLER: 0
; COMPUTE_PGM_RSRC2:TGID_X_EN: 1
; COMPUTE_PGM_RSRC2:TGID_Y_EN: 0
; COMPUTE_PGM_RSRC2:TGID_Z_EN: 0
; COMPUTE_PGM_RSRC2:TIDIG_COMP_CNT: 0
; COMPUTE_PGM_RSRC3_GFX90A:ACCUM_OFFSET: 12
; COMPUTE_PGM_RSRC3_GFX90A:TG_SPLIT: 0
	.text
	.p2alignl 6, 3212836864
	.fill 256, 4, 3212836864
	.type	__hip_cuid_ab2e1207346597df,@object ; @__hip_cuid_ab2e1207346597df
	.section	.bss,"aw",@nobits
	.globl	__hip_cuid_ab2e1207346597df
__hip_cuid_ab2e1207346597df:
	.byte	0                               ; 0x0
	.size	__hip_cuid_ab2e1207346597df, 1

	.ident	"AMD clang version 19.0.0git (https://github.com/RadeonOpenCompute/llvm-project roc-6.4.0 25133 c7fe45cf4b819c5991fe208aaa96edf142730f1d)"
	.section	".note.GNU-stack","",@progbits
	.addrsig
	.addrsig_sym __hip_cuid_ab2e1207346597df
	.amdgpu_metadata
---
amdhsa.kernels:
  - .agpr_count:     0
    .args:
      - .actual_access:  read_only
        .address_space:  global
        .offset:         0
        .size:           8
        .value_kind:     global_buffer
      - .offset:         8
        .size:           8
        .value_kind:     by_value
      - .actual_access:  read_only
        .address_space:  global
        .offset:         16
        .size:           8
        .value_kind:     global_buffer
      - .actual_access:  read_only
        .address_space:  global
        .offset:         24
        .size:           8
        .value_kind:     global_buffer
      - .actual_access:  read_only
        .address_space:  global
        .offset:         32
        .size:           8
        .value_kind:     global_buffer
      - .offset:         40
        .size:           8
        .value_kind:     by_value
      - .actual_access:  read_only
        .address_space:  global
        .offset:         48
        .size:           8
        .value_kind:     global_buffer
      - .actual_access:  read_only
        .address_space:  global
        .offset:         56
        .size:           8
        .value_kind:     global_buffer
      - .offset:         64
        .size:           4
        .value_kind:     by_value
      - .actual_access:  read_only
        .address_space:  global
        .offset:         72
        .size:           8
        .value_kind:     global_buffer
      - .actual_access:  read_only
        .address_space:  global
        .offset:         80
        .size:           8
        .value_kind:     global_buffer
      - .actual_access:  read_only
        .address_space:  global
        .offset:         88
        .size:           8
        .value_kind:     global_buffer
      - .actual_access:  write_only
        .address_space:  global
        .offset:         96
        .size:           8
        .value_kind:     global_buffer
    .group_segment_fixed_size: 0
    .kernarg_segment_align: 8
    .kernarg_segment_size: 104
    .language:       OpenCL C
    .language_version:
      - 2
      - 0
    .max_flat_workgroup_size: 512
    .name:           fft_rtc_back_len512_factors_8_8_8_wgs_512_tpt_128_sp_op_CI_CI_sbrc_z_xy_aligned
    .private_segment_fixed_size: 0
    .sgpr_count:     32
    .sgpr_spill_count: 0
    .symbol:         fft_rtc_back_len512_factors_8_8_8_wgs_512_tpt_128_sp_op_CI_CI_sbrc_z_xy_aligned.kd
    .uniform_work_group_size: 1
    .uses_dynamic_stack: false
    .vgpr_count:     50
    .vgpr_spill_count: 0
    .wavefront_size: 64
amdhsa.target:   amdgcn-amd-amdhsa--gfx950
amdhsa.version:
  - 1
  - 2
...

	.end_amdgpu_metadata
